;; amdgpu-corpus repo=ROCm/rocFFT kind=compiled arch=gfx1201 opt=O3
	.text
	.amdgcn_target "amdgcn-amd-amdhsa--gfx1201"
	.amdhsa_code_object_version 6
	.protected	fft_rtc_back_len143_factors_13_11_wgs_182_tpt_13_dp_op_CI_CI_unitstride_sbrr_dirReg ; -- Begin function fft_rtc_back_len143_factors_13_11_wgs_182_tpt_13_dp_op_CI_CI_unitstride_sbrr_dirReg
	.globl	fft_rtc_back_len143_factors_13_11_wgs_182_tpt_13_dp_op_CI_CI_unitstride_sbrr_dirReg
	.p2align	8
	.type	fft_rtc_back_len143_factors_13_11_wgs_182_tpt_13_dp_op_CI_CI_unitstride_sbrr_dirReg,@function
fft_rtc_back_len143_factors_13_11_wgs_182_tpt_13_dp_op_CI_CI_unitstride_sbrr_dirReg: ; @fft_rtc_back_len143_factors_13_11_wgs_182_tpt_13_dp_op_CI_CI_unitstride_sbrr_dirReg
; %bb.0:
	s_load_b128 s[8:11], s[0:1], 0x0
	v_mul_u32_u24_e32 v1, 0x13b2, v0
	s_clause 0x1
	s_load_b128 s[4:7], s[0:1], 0x58
	s_load_b128 s[12:15], s[0:1], 0x18
	s_delay_alu instid0(VALU_DEP_1) | instskip(SKIP_3) | instid1(VALU_DEP_2)
	v_lshrrev_b32_e32 v2, 16, v1
	v_mov_b32_e32 v1, 0
	v_mov_b32_e32 v61, 0
	v_mov_b32_e32 v62, 0
	v_mov_b32_e32 v52, v61
	v_mad_co_u64_u32 v[59:60], null, ttmp9, 14, v[2:3]
	s_delay_alu instid0(VALU_DEP_3) | instskip(NEXT) | instid1(VALU_DEP_1)
	v_dual_mov_b32 v60, v1 :: v_dual_mov_b32 v53, v62
	v_dual_mov_b32 v54, v59 :: v_dual_mov_b32 v55, v60
	s_wait_kmcnt 0x0
	v_cmp_lt_u64_e64 s2, s[10:11], 2
	s_delay_alu instid0(VALU_DEP_1)
	s_and_b32 vcc_lo, exec_lo, s2
	s_cbranch_vccnz .LBB0_8
; %bb.1:
	s_load_b64 s[2:3], s[0:1], 0x10
	v_mov_b32_e32 v61, 0
	v_dual_mov_b32 v62, 0 :: v_dual_mov_b32 v3, v59
	v_mov_b32_e32 v4, v60
	s_delay_alu instid0(VALU_DEP_3) | instskip(SKIP_1) | instid1(VALU_DEP_3)
	v_mov_b32_e32 v52, v61
	s_add_nc_u64 s[16:17], s[14:15], 8
	v_mov_b32_e32 v53, v62
	s_add_nc_u64 s[18:19], s[12:13], 8
	s_mov_b64 s[20:21], 1
	s_wait_kmcnt 0x0
	s_add_nc_u64 s[22:23], s[2:3], 8
	s_mov_b32 s3, 0
.LBB0_2:                                ; =>This Inner Loop Header: Depth=1
	s_load_b64 s[24:25], s[22:23], 0x0
                                        ; implicit-def: $vgpr54_vgpr55
	s_mov_b32 s2, exec_lo
	s_wait_kmcnt 0x0
	v_or_b32_e32 v2, s25, v4
	s_delay_alu instid0(VALU_DEP_1)
	v_cmpx_ne_u64_e32 0, v[1:2]
	s_wait_alu 0xfffe
	s_xor_b32 s26, exec_lo, s2
	s_cbranch_execz .LBB0_4
; %bb.3:                                ;   in Loop: Header=BB0_2 Depth=1
	s_cvt_f32_u32 s2, s24
	s_cvt_f32_u32 s27, s25
	s_sub_nc_u64 s[30:31], 0, s[24:25]
	s_wait_alu 0xfffe
	s_delay_alu instid0(SALU_CYCLE_1) | instskip(SKIP_1) | instid1(SALU_CYCLE_2)
	s_fmamk_f32 s2, s27, 0x4f800000, s2
	s_wait_alu 0xfffe
	v_s_rcp_f32 s2, s2
	s_delay_alu instid0(TRANS32_DEP_1) | instskip(SKIP_1) | instid1(SALU_CYCLE_2)
	s_mul_f32 s2, s2, 0x5f7ffffc
	s_wait_alu 0xfffe
	s_mul_f32 s27, s2, 0x2f800000
	s_wait_alu 0xfffe
	s_delay_alu instid0(SALU_CYCLE_2) | instskip(SKIP_1) | instid1(SALU_CYCLE_2)
	s_trunc_f32 s27, s27
	s_wait_alu 0xfffe
	s_fmamk_f32 s2, s27, 0xcf800000, s2
	s_cvt_u32_f32 s29, s27
	s_wait_alu 0xfffe
	s_delay_alu instid0(SALU_CYCLE_1) | instskip(SKIP_1) | instid1(SALU_CYCLE_2)
	s_cvt_u32_f32 s28, s2
	s_wait_alu 0xfffe
	s_mul_u64 s[34:35], s[30:31], s[28:29]
	s_wait_alu 0xfffe
	s_mul_hi_u32 s37, s28, s35
	s_mul_i32 s36, s28, s35
	s_mul_hi_u32 s2, s28, s34
	s_mul_i32 s33, s29, s34
	s_wait_alu 0xfffe
	s_add_nc_u64 s[36:37], s[2:3], s[36:37]
	s_mul_hi_u32 s27, s29, s34
	s_mul_hi_u32 s38, s29, s35
	s_add_co_u32 s2, s36, s33
	s_wait_alu 0xfffe
	s_add_co_ci_u32 s2, s37, s27
	s_mul_i32 s34, s29, s35
	s_add_co_ci_u32 s35, s38, 0
	s_wait_alu 0xfffe
	s_add_nc_u64 s[34:35], s[2:3], s[34:35]
	s_wait_alu 0xfffe
	v_add_co_u32 v2, s2, s28, s34
	s_delay_alu instid0(VALU_DEP_1) | instskip(SKIP_1) | instid1(VALU_DEP_1)
	s_cmp_lg_u32 s2, 0
	s_add_co_ci_u32 s29, s29, s35
	v_readfirstlane_b32 s28, v2
	s_wait_alu 0xfffe
	s_delay_alu instid0(VALU_DEP_1)
	s_mul_u64 s[30:31], s[30:31], s[28:29]
	s_wait_alu 0xfffe
	s_mul_hi_u32 s35, s28, s31
	s_mul_i32 s34, s28, s31
	s_mul_hi_u32 s2, s28, s30
	s_mul_i32 s33, s29, s30
	s_wait_alu 0xfffe
	s_add_nc_u64 s[34:35], s[2:3], s[34:35]
	s_mul_hi_u32 s27, s29, s30
	s_mul_hi_u32 s28, s29, s31
	s_wait_alu 0xfffe
	s_add_co_u32 s2, s34, s33
	s_add_co_ci_u32 s2, s35, s27
	s_mul_i32 s30, s29, s31
	s_add_co_ci_u32 s31, s28, 0
	s_wait_alu 0xfffe
	s_add_nc_u64 s[30:31], s[2:3], s[30:31]
	s_wait_alu 0xfffe
	v_add_co_u32 v2, s2, v2, s30
	s_delay_alu instid0(VALU_DEP_1) | instskip(SKIP_1) | instid1(VALU_DEP_1)
	s_cmp_lg_u32 s2, 0
	s_add_co_ci_u32 s2, s29, s31
	v_mul_hi_u32 v11, v3, v2
	s_wait_alu 0xfffe
	v_mad_co_u64_u32 v[5:6], null, v3, s2, 0
	v_mad_co_u64_u32 v[7:8], null, v4, v2, 0
	;; [unrolled: 1-line block ×3, first 2 shown]
	s_delay_alu instid0(VALU_DEP_3) | instskip(SKIP_1) | instid1(VALU_DEP_4)
	v_add_co_u32 v2, vcc_lo, v11, v5
	s_wait_alu 0xfffd
	v_add_co_ci_u32_e32 v5, vcc_lo, 0, v6, vcc_lo
	s_delay_alu instid0(VALU_DEP_2) | instskip(SKIP_1) | instid1(VALU_DEP_2)
	v_add_co_u32 v2, vcc_lo, v2, v7
	s_wait_alu 0xfffd
	v_add_co_ci_u32_e32 v2, vcc_lo, v5, v8, vcc_lo
	s_wait_alu 0xfffd
	v_add_co_ci_u32_e32 v5, vcc_lo, 0, v10, vcc_lo
	s_delay_alu instid0(VALU_DEP_2) | instskip(SKIP_1) | instid1(VALU_DEP_2)
	v_add_co_u32 v2, vcc_lo, v2, v9
	s_wait_alu 0xfffd
	v_add_co_ci_u32_e32 v7, vcc_lo, 0, v5, vcc_lo
	s_delay_alu instid0(VALU_DEP_2) | instskip(SKIP_1) | instid1(VALU_DEP_3)
	v_mul_lo_u32 v8, s25, v2
	v_mad_co_u64_u32 v[5:6], null, s24, v2, 0
	v_mul_lo_u32 v9, s24, v7
	s_delay_alu instid0(VALU_DEP_2) | instskip(NEXT) | instid1(VALU_DEP_2)
	v_sub_co_u32 v5, vcc_lo, v3, v5
	v_add3_u32 v6, v6, v9, v8
	s_delay_alu instid0(VALU_DEP_1) | instskip(SKIP_1) | instid1(VALU_DEP_1)
	v_sub_nc_u32_e32 v8, v4, v6
	s_wait_alu 0xfffd
	v_subrev_co_ci_u32_e64 v8, s2, s25, v8, vcc_lo
	v_add_co_u32 v9, s2, v2, 2
	s_wait_alu 0xf1ff
	v_add_co_ci_u32_e64 v10, s2, 0, v7, s2
	v_sub_co_u32 v11, s2, v5, s24
	v_sub_co_ci_u32_e32 v6, vcc_lo, v4, v6, vcc_lo
	s_wait_alu 0xf1ff
	v_subrev_co_ci_u32_e64 v8, s2, 0, v8, s2
	s_delay_alu instid0(VALU_DEP_3) | instskip(NEXT) | instid1(VALU_DEP_3)
	v_cmp_le_u32_e32 vcc_lo, s24, v11
	v_cmp_eq_u32_e64 s2, s25, v6
	s_wait_alu 0xfffd
	v_cndmask_b32_e64 v11, 0, -1, vcc_lo
	v_cmp_le_u32_e32 vcc_lo, s25, v8
	s_wait_alu 0xfffd
	v_cndmask_b32_e64 v12, 0, -1, vcc_lo
	v_cmp_le_u32_e32 vcc_lo, s24, v5
	;; [unrolled: 3-line block ×3, first 2 shown]
	s_wait_alu 0xfffd
	v_cndmask_b32_e64 v13, 0, -1, vcc_lo
	v_cmp_eq_u32_e32 vcc_lo, s25, v8
	s_wait_alu 0xf1ff
	s_delay_alu instid0(VALU_DEP_2)
	v_cndmask_b32_e64 v5, v13, v5, s2
	s_wait_alu 0xfffd
	v_cndmask_b32_e32 v8, v12, v11, vcc_lo
	v_add_co_u32 v11, vcc_lo, v2, 1
	s_wait_alu 0xfffd
	v_add_co_ci_u32_e32 v12, vcc_lo, 0, v7, vcc_lo
	s_delay_alu instid0(VALU_DEP_3) | instskip(SKIP_1) | instid1(VALU_DEP_2)
	v_cmp_ne_u32_e32 vcc_lo, 0, v8
	s_wait_alu 0xfffd
	v_cndmask_b32_e32 v6, v12, v10, vcc_lo
	v_cndmask_b32_e32 v8, v11, v9, vcc_lo
	v_cmp_ne_u32_e32 vcc_lo, 0, v5
	s_wait_alu 0xfffd
	s_delay_alu instid0(VALU_DEP_2)
	v_dual_cndmask_b32 v55, v7, v6 :: v_dual_cndmask_b32 v54, v2, v8
.LBB0_4:                                ;   in Loop: Header=BB0_2 Depth=1
	s_wait_alu 0xfffe
	s_and_not1_saveexec_b32 s2, s26
	s_cbranch_execz .LBB0_6
; %bb.5:                                ;   in Loop: Header=BB0_2 Depth=1
	v_cvt_f32_u32_e32 v2, s24
	s_sub_co_i32 s26, 0, s24
	v_mov_b32_e32 v55, v1
	s_delay_alu instid0(VALU_DEP_2) | instskip(NEXT) | instid1(TRANS32_DEP_1)
	v_rcp_iflag_f32_e32 v2, v2
	v_mul_f32_e32 v2, 0x4f7ffffe, v2
	s_delay_alu instid0(VALU_DEP_1) | instskip(SKIP_1) | instid1(VALU_DEP_1)
	v_cvt_u32_f32_e32 v2, v2
	s_wait_alu 0xfffe
	v_mul_lo_u32 v5, s26, v2
	s_delay_alu instid0(VALU_DEP_1) | instskip(NEXT) | instid1(VALU_DEP_1)
	v_mul_hi_u32 v5, v2, v5
	v_add_nc_u32_e32 v2, v2, v5
	s_delay_alu instid0(VALU_DEP_1) | instskip(NEXT) | instid1(VALU_DEP_1)
	v_mul_hi_u32 v2, v3, v2
	v_mul_lo_u32 v5, v2, s24
	v_add_nc_u32_e32 v6, 1, v2
	s_delay_alu instid0(VALU_DEP_2) | instskip(NEXT) | instid1(VALU_DEP_1)
	v_sub_nc_u32_e32 v5, v3, v5
	v_subrev_nc_u32_e32 v7, s24, v5
	v_cmp_le_u32_e32 vcc_lo, s24, v5
	s_wait_alu 0xfffd
	s_delay_alu instid0(VALU_DEP_2) | instskip(NEXT) | instid1(VALU_DEP_1)
	v_dual_cndmask_b32 v5, v5, v7 :: v_dual_cndmask_b32 v2, v2, v6
	v_cmp_le_u32_e32 vcc_lo, s24, v5
	s_delay_alu instid0(VALU_DEP_2) | instskip(SKIP_1) | instid1(VALU_DEP_1)
	v_add_nc_u32_e32 v6, 1, v2
	s_wait_alu 0xfffd
	v_cndmask_b32_e32 v54, v2, v6, vcc_lo
.LBB0_6:                                ;   in Loop: Header=BB0_2 Depth=1
	s_wait_alu 0xfffe
	s_or_b32 exec_lo, exec_lo, s2
	v_mul_lo_u32 v2, v55, s24
	s_delay_alu instid0(VALU_DEP_2)
	v_mul_lo_u32 v7, v54, s25
	s_load_b64 s[26:27], s[18:19], 0x0
	v_mad_co_u64_u32 v[5:6], null, v54, s24, 0
	s_load_b64 s[24:25], s[16:17], 0x0
	s_add_nc_u64 s[20:21], s[20:21], 1
	s_add_nc_u64 s[16:17], s[16:17], 8
	s_wait_alu 0xfffe
	v_cmp_ge_u64_e64 s2, s[20:21], s[10:11]
	s_add_nc_u64 s[18:19], s[18:19], 8
	s_add_nc_u64 s[22:23], s[22:23], 8
	v_add3_u32 v2, v6, v7, v2
	v_sub_co_u32 v3, vcc_lo, v3, v5
	s_wait_alu 0xfffd
	s_delay_alu instid0(VALU_DEP_2) | instskip(SKIP_2) | instid1(VALU_DEP_1)
	v_sub_co_ci_u32_e32 v2, vcc_lo, v4, v2, vcc_lo
	s_and_b32 vcc_lo, exec_lo, s2
	s_wait_kmcnt 0x0
	v_mul_lo_u32 v4, s26, v2
	v_mul_lo_u32 v5, s27, v3
	v_mad_co_u64_u32 v[61:62], null, s26, v3, v[61:62]
	v_mul_lo_u32 v2, s24, v2
	v_mul_lo_u32 v6, s25, v3
	v_mad_co_u64_u32 v[52:53], null, s24, v3, v[52:53]
	s_delay_alu instid0(VALU_DEP_4) | instskip(NEXT) | instid1(VALU_DEP_2)
	v_add3_u32 v62, v5, v62, v4
	v_add3_u32 v53, v6, v53, v2
	s_wait_alu 0xfffe
	s_cbranch_vccnz .LBB0_8
; %bb.7:                                ;   in Loop: Header=BB0_2 Depth=1
	v_dual_mov_b32 v3, v54 :: v_dual_mov_b32 v4, v55
	s_branch .LBB0_2
.LBB0_8:
	s_load_b64 s[0:1], s[0:1], 0x28
	s_lshl_b64 s[10:11], s[10:11], 3
	v_mul_hi_u32 v1, 0x13b13b14, v0
	s_wait_alu 0xfffe
	s_add_nc_u64 s[2:3], s[14:15], s[10:11]
	v_mov_b32_e32 v56, 0
	s_load_b64 s[2:3], s[2:3], 0x0
                                        ; implicit-def: $vgpr2_vgpr3
                                        ; implicit-def: $vgpr6_vgpr7
                                        ; implicit-def: $vgpr10_vgpr11
                                        ; implicit-def: $vgpr14_vgpr15
                                        ; implicit-def: $vgpr22_vgpr23
                                        ; implicit-def: $vgpr26_vgpr27
                                        ; implicit-def: $vgpr30_vgpr31
                                        ; implicit-def: $vgpr42_vgpr43
                                        ; implicit-def: $vgpr46_vgpr47
                                        ; implicit-def: $vgpr38_vgpr39
                                        ; implicit-def: $vgpr34_vgpr35
                                        ; implicit-def: $vgpr50_vgpr51
                                        ; implicit-def: $vgpr18_vgpr19
	s_delay_alu instid0(VALU_DEP_2) | instskip(NEXT) | instid1(VALU_DEP_1)
	v_mul_u32_u24_e32 v1, 13, v1
	v_sub_nc_u32_e32 v57, v0, v1
	s_wait_kmcnt 0x0
	v_cmp_gt_u64_e32 vcc_lo, s[0:1], v[54:55]
	s_and_saveexec_b32 s1, vcc_lo
	s_cbranch_execz .LBB0_12
; %bb.9:
	s_mov_b32 s14, exec_lo
                                        ; implicit-def: $vgpr16_vgpr17
                                        ; implicit-def: $vgpr48_vgpr49
                                        ; implicit-def: $vgpr32_vgpr33
                                        ; implicit-def: $vgpr36_vgpr37
                                        ; implicit-def: $vgpr44_vgpr45
                                        ; implicit-def: $vgpr40_vgpr41
                                        ; implicit-def: $vgpr28_vgpr29
                                        ; implicit-def: $vgpr24_vgpr25
                                        ; implicit-def: $vgpr20_vgpr21
                                        ; implicit-def: $vgpr12_vgpr13
                                        ; implicit-def: $vgpr8_vgpr9
                                        ; implicit-def: $vgpr4_vgpr5
                                        ; implicit-def: $vgpr0_vgpr1
	v_cmpx_gt_u32_e32 11, v57
	s_cbranch_execz .LBB0_11
; %bb.10:
	s_add_nc_u64 s[10:11], s[12:13], s[10:11]
	v_mov_b32_e32 v58, 0
	s_load_b64 s[10:11], s[10:11], 0x0
	s_wait_kmcnt 0x0
	v_mul_lo_u32 v2, s11, v54
	v_mul_lo_u32 v3, s10, v55
	v_mad_co_u64_u32 v[0:1], null, s10, v54, 0
	s_delay_alu instid0(VALU_DEP_1) | instskip(SKIP_1) | instid1(VALU_DEP_2)
	v_add3_u32 v1, v1, v3, v2
	v_lshlrev_b64_e32 v[2:3], 4, v[61:62]
	v_lshlrev_b64_e32 v[0:1], 4, v[0:1]
	s_delay_alu instid0(VALU_DEP_1) | instskip(SKIP_1) | instid1(VALU_DEP_2)
	v_add_co_u32 v4, s0, s4, v0
	s_wait_alu 0xf1ff
	v_add_co_ci_u32_e64 v5, s0, s5, v1, s0
	v_lshlrev_b64_e32 v[0:1], 4, v[57:58]
	s_delay_alu instid0(VALU_DEP_3) | instskip(SKIP_1) | instid1(VALU_DEP_3)
	v_add_co_u32 v2, s0, v4, v2
	s_wait_alu 0xf1ff
	v_add_co_ci_u32_e64 v3, s0, v5, v3, s0
	s_delay_alu instid0(VALU_DEP_2) | instskip(SKIP_1) | instid1(VALU_DEP_2)
	v_add_co_u32 v0, s0, v2, v0
	s_wait_alu 0xf1ff
	v_add_co_ci_u32_e64 v1, s0, v3, v1, s0
	s_clause 0xc
	global_load_b128 v[16:19], v[0:1], off
	global_load_b128 v[48:51], v[0:1], off offset:176
	global_load_b128 v[32:35], v[0:1], off offset:352
	;; [unrolled: 1-line block ×12, first 2 shown]
.LBB0_11:
	s_or_b32 exec_lo, exec_lo, s14
	v_mov_b32_e32 v56, v57
.LBB0_12:
	s_wait_alu 0xfffe
	s_or_b32 exec_lo, exec_lo, s1
	v_lshrrev_b32_e32 v58, 1, v59
	s_mov_b32 s33, exec_lo
	s_delay_alu instid0(VALU_DEP_1) | instskip(NEXT) | instid1(VALU_DEP_1)
	v_mul_hi_u32 v58, 0x92492493, v58
	v_lshrrev_b32_e32 v58, 2, v58
	s_delay_alu instid0(VALU_DEP_1) | instskip(NEXT) | instid1(VALU_DEP_1)
	v_mul_lo_u32 v58, v58, 14
	v_sub_nc_u32_e32 v58, v59, v58
	s_delay_alu instid0(VALU_DEP_1)
	v_mul_u32_u24_e32 v64, 0x8f, v58
	v_cmpx_gt_u32_e32 11, v57
	s_cbranch_execz .LBB0_14
; %bb.13:
	s_wait_loadcnt 0xb
	v_add_f64_e32 v[58:59], v[50:51], v[18:19]
	v_add_f64_e32 v[60:61], v[48:49], v[16:17]
	s_wait_loadcnt 0x0
	v_add_f64_e64 v[69:70], v[48:49], -v[0:1]
	v_add_f64_e32 v[73:74], v[0:1], v[48:49]
	s_mov_b32 s22, 0x2ef20147
	s_mov_b32 s12, 0x24c2f84
	;; [unrolled: 1-line block ×8, first 2 shown]
	v_add_f64_e32 v[71:72], v[2:3], v[50:51]
	v_add_f64_e64 v[75:76], v[32:33], -v[4:5]
	v_add_f64_e32 v[77:78], v[4:5], v[32:33]
	v_add_f64_e64 v[79:80], v[36:37], -v[8:9]
	;; [unrolled: 2-line block ×4, first 2 shown]
	s_mov_b32 s30, 0x66966769
	s_mov_b32 s4, 0x42a4c3d2
	;; [unrolled: 1-line block ×18, first 2 shown]
	v_add_f64_e32 v[58:59], v[34:35], v[58:59]
	v_add_f64_e32 v[60:61], v[32:33], v[60:61]
	v_add_f64_e64 v[32:33], v[42:43], -v[22:23]
	s_wait_alu 0xfffe
	v_mul_f64_e32 v[95:96], s[0:1], v[69:70]
	v_mul_f64_e32 v[97:98], s[12:13], v[69:70]
	;; [unrolled: 1-line block ×4, first 2 shown]
	s_mov_b32 s21, 0x3fec55a7
	s_mov_b32 s43, 0x3fe5384d
	;; [unrolled: 1-line block ×6, first 2 shown]
	v_add_f64_e32 v[48:49], v[26:27], v[30:31]
	v_add_f64_e32 v[62:63], v[24:25], v[28:29]
	;; [unrolled: 1-line block ×3, first 2 shown]
	s_wait_alu 0xfffe
	v_mul_f64_e32 v[101:102], s[34:35], v[69:70]
	v_mul_f64_e32 v[103:104], s[16:17], v[69:70]
	;; [unrolled: 1-line block ×10, first 2 shown]
	v_add_f64_e64 v[34:35], v[34:35], -v[6:7]
	s_mov_b32 s37, 0x3fedeba7
	s_mov_b32 s41, 0x3fcea1e5
	;; [unrolled: 1-line block ×4, first 2 shown]
	v_add_f64_e64 v[87:88], v[44:45], -v[12:13]
	v_add_f64_e32 v[91:92], v[10:11], v[38:39]
	v_mul_f64_e32 v[115:116], s[12:13], v[79:80]
	v_mul_f64_e32 v[117:118], s[24:25], v[81:82]
	v_mul_f64_e32 v[121:122], s[38:39], v[77:78]
	v_mul_f64_e32 v[123:124], s[16:17], v[79:80]
	v_mul_f64_e32 v[125:126], s[26:27], v[81:82]
	v_add_f64_e32 v[65:66], v[38:39], v[58:59]
	v_add_f64_e32 v[67:68], v[36:37], v[60:61]
	;; [unrolled: 1-line block ×3, first 2 shown]
	v_add_f64_e64 v[60:61], v[28:29], -v[24:25]
	v_add_f64_e64 v[58:59], v[30:31], -v[26:27]
	v_fma_f64 v[151:152], v[71:72], s[18:19], v[95:96]
	v_fma_f64 v[95:96], v[71:72], s[18:19], -v[95:96]
	v_fma_f64 v[153:154], v[71:72], s[24:25], v[97:98]
	v_fma_f64 v[97:98], v[71:72], s[24:25], -v[97:98]
	v_fma_f64 v[155:156], v[71:72], s[28:29], v[99:100]
	v_add_f64_e64 v[38:39], v[38:39], -v[10:11]
	v_mul_f64_e32 v[127:128], s[14:15], v[79:80]
	v_mul_f64_e32 v[129:130], s[36:37], v[79:80]
	;; [unrolled: 1-line block ×13, first 2 shown]
	v_fma_f64 v[99:100], v[71:72], s[28:29], -v[99:100]
	v_fma_f64 v[157:158], v[71:72], s[38:39], v[101:102]
	v_fma_f64 v[101:102], v[71:72], s[38:39], -v[101:102]
	v_fma_f64 v[159:160], v[71:72], s[26:27], v[103:104]
	;; [unrolled: 2-line block ×4, first 2 shown]
	v_fma_f64 v[163:164], v[50:51], s[30:31], v[111:112]
	v_fma_f64 v[111:112], v[50:51], s[34:35], v[111:112]
	;; [unrolled: 1-line block ×6, first 2 shown]
	v_add_f64_e32 v[65:66], v[46:47], v[65:66]
	v_add_f64_e32 v[67:68], v[44:45], v[67:68]
	v_fma_f64 v[119:120], v[93:94], s[38:39], -v[119:120]
	v_add_f64_e32 v[44:45], v[12:13], v[44:45]
	v_add_f64_e32 v[89:90], v[14:15], v[46:47]
	;; [unrolled: 1-line block ×7, first 2 shown]
	v_fma_f64 v[171:172], v[91:92], s[24:25], v[115:116]
	v_fma_f64 v[173:174], v[38:39], s[42:43], v[117:118]
	v_fma_f64 v[115:116], v[91:92], s[24:25], -v[115:116]
	v_fma_f64 v[117:118], v[38:39], s[12:13], v[117:118]
	v_fma_f64 v[177:178], v[34:35], s[34:35], v[121:122]
	v_fma_f64 v[179:180], v[91:92], s[26:27], v[123:124]
	v_fma_f64 v[181:182], v[38:39], s[4:5], v[125:126]
	v_fma_f64 v[121:122], v[34:35], s[30:31], v[121:122]
	v_fma_f64 v[123:124], v[91:92], s[26:27], -v[123:124]
	v_fma_f64 v[125:126], v[38:39], s[16:17], v[125:126]
	v_fma_f64 v[183:184], v[91:92], s[20:21], v[127:128]
	v_fma_f64 v[127:128], v[91:92], s[20:21], -v[127:128]
	v_fma_f64 v[185:186], v[91:92], s[28:29], v[129:130]
	v_fma_f64 v[129:130], v[91:92], s[28:29], -v[129:130]
	;; [unrolled: 2-line block ×4, first 2 shown]
	v_fma_f64 v[91:92], v[93:94], s[18:19], v[135:136]
	v_add_f64_e32 v[99:100], v[18:19], v[99:100]
	v_add_f64_e32 v[157:158], v[18:19], v[157:158]
	;; [unrolled: 1-line block ×11, first 2 shown]
	v_mul_f64_e32 v[65:66], s[14:15], v[75:76]
	v_mul_f64_e32 v[67:68], s[20:21], v[77:78]
	;; [unrolled: 1-line block ×4, first 2 shown]
	v_add_f64_e32 v[113:114], v[16:17], v[113:114]
	v_add_f64_e32 v[161:162], v[18:19], v[161:162]
	;; [unrolled: 1-line block ×4, first 2 shown]
	v_fma_f64 v[69:70], v[93:94], s[28:29], -v[137:138]
	v_fma_f64 v[191:192], v[38:39], s[22:23], v[147:148]
	v_fma_f64 v[147:148], v[38:39], s[36:37], v[147:148]
	;; [unrolled: 1-line block ×5, first 2 shown]
	v_add_f64_e32 v[97:98], v[119:120], v[97:98]
	v_add_f64_e64 v[46:47], v[46:47], -v[14:15]
	v_mul_f64_e32 v[119:120], s[30:31], v[60:61]
	v_add_f64_e32 v[91:92], v[91:92], v[157:158]
	v_add_f64_e32 v[71:72], v[177:178], v[71:72]
	v_mul_f64_e32 v[157:158], s[22:23], v[60:61]
	v_add_f64_e32 v[30:31], v[30:31], v[42:43]
	v_add_f64_e32 v[28:29], v[28:29], v[40:41]
	v_fma_f64 v[42:43], v[50:51], s[0:1], v[105:106]
	v_fma_f64 v[40:41], v[50:51], s[40:41], v[105:106]
	;; [unrolled: 1-line block ×7, first 2 shown]
	v_fma_f64 v[65:66], v[93:94], s[20:21], -v[65:66]
	v_fma_f64 v[169:170], v[34:35], s[10:11], v[67:68]
	v_fma_f64 v[67:68], v[34:35], s[14:15], v[67:68]
	v_add_f64_e32 v[69:70], v[69:70], v[103:104]
	v_mul_f64_e32 v[103:104], s[42:43], v[87:88]
	v_add_f64_e32 v[97:98], v[123:124], v[97:98]
	v_add_f64_e32 v[91:92], v[185:186], v[91:92]
	;; [unrolled: 1-line block ×5, first 2 shown]
	v_fma_f64 v[28:29], v[93:94], s[24:25], v[133:134]
	v_add_f64_e32 v[42:43], v[16:17], v[42:43]
	v_fma_f64 v[30:31], v[93:94], s[24:25], -v[133:134]
	v_fma_f64 v[133:134], v[93:94], s[18:19], -v[135:136]
	v_fma_f64 v[135:136], v[34:35], s[12:13], v[139:140]
	v_add_f64_e32 v[40:41], v[16:17], v[40:41]
	v_add_f64_e32 v[105:106], v[16:17], v[105:106]
	;; [unrolled: 1-line block ×5, first 2 shown]
	v_fma_f64 v[50:51], v[93:94], s[28:29], v[137:138]
	v_fma_f64 v[137:138], v[93:94], s[26:27], v[75:76]
	;; [unrolled: 1-line block ×3, first 2 shown]
	v_fma_f64 v[75:76], v[93:94], s[26:27], -v[75:76]
	v_fma_f64 v[93:94], v[34:35], s[40:41], v[141:142]
	v_fma_f64 v[141:142], v[34:35], s[0:1], v[141:142]
	v_add_f64_e32 v[73:74], v[73:74], v[151:152]
	v_add_f64_e32 v[65:66], v[65:66], v[95:96]
	;; [unrolled: 1-line block ×3, first 2 shown]
	v_mul_f64_e32 v[151:152], s[22:23], v[83:84]
	v_mul_f64_e32 v[153:154], s[28:29], v[85:86]
	v_add_f64_e32 v[22:23], v[22:23], v[26:27]
	v_add_f64_e32 v[20:21], v[20:21], v[24:25]
	v_fma_f64 v[24:25], v[34:35], s[36:37], v[143:144]
	v_fma_f64 v[26:27], v[34:35], s[22:23], v[143:144]
	;; [unrolled: 1-line block ×7, first 2 shown]
	v_mul_f64_e32 v[81:82], s[4:5], v[87:88]
	v_add_f64_e32 v[28:29], v[28:29], v[155:156]
	v_mul_f64_e32 v[155:156], s[40:41], v[87:88]
	v_add_f64_e32 v[42:43], v[67:68], v[42:43]
	;; [unrolled: 2-line block ×3, first 2 shown]
	v_add_f64_e32 v[107:108], v[135:136], v[107:108]
	v_mul_f64_e32 v[135:136], s[18:19], v[44:45]
	v_add_f64_e32 v[30:31], v[30:31], v[99:100]
	v_mul_f64_e32 v[99:100], s[14:15], v[83:84]
	v_add_f64_e32 v[109:110], v[139:140], v[109:110]
	v_add_f64_e32 v[93:94], v[93:94], v[163:164]
	;; [unrolled: 1-line block ×3, first 2 shown]
	v_mul_f64_e32 v[133:134], s[34:35], v[87:88]
	v_add_f64_e32 v[111:112], v[141:142], v[111:112]
	v_mul_f64_e32 v[141:142], s[38:39], v[44:45]
	v_add_f64_e32 v[50:51], v[50:51], v[159:160]
	v_mul_f64_e32 v[159:160], s[14:15], v[87:88]
	v_mul_f64_e32 v[87:88], s[22:23], v[87:88]
	v_add_f64_e32 v[137:138], v[137:138], v[161:162]
	v_add_f64_e32 v[73:74], v[171:172], v[73:74]
	;; [unrolled: 1-line block ×6, first 2 shown]
	v_mul_f64_e32 v[139:140], s[20:21], v[85:86]
	v_mul_f64_e32 v[161:162], s[40:41], v[83:84]
	;; [unrolled: 1-line block ×5, first 2 shown]
	v_fma_f64 v[179:180], v[89:90], s[24:25], v[103:104]
	v_add_f64_e32 v[24:25], v[24:25], v[165:166]
	v_mul_f64_e32 v[165:166], s[20:21], v[44:45]
	v_add_f64_e32 v[26:27], v[26:27], v[113:114]
	v_mul_f64_e32 v[113:114], s[24:25], v[44:45]
	;; [unrolled: 2-line block ×3, first 2 shown]
	v_add_f64_e32 v[143:144], v[143:144], v[167:168]
	v_fma_f64 v[115:116], v[89:90], s[26:27], v[81:82]
	v_mul_f64_e32 v[167:168], s[18:19], v[85:86]
	v_fma_f64 v[123:124], v[89:90], s[18:19], v[155:156]
	v_add_f64_e32 v[42:43], v[117:118], v[42:43]
	v_fma_f64 v[117:118], v[46:47], s[16:17], v[67:68]
	v_fma_f64 v[67:68], v[46:47], s[4:5], v[67:68]
	v_mul_f64_e32 v[34:35], s[26:27], v[85:86]
	v_fma_f64 v[81:82], v[89:90], s[26:27], -v[81:82]
	v_add_f64_e32 v[105:106], v[125:126], v[105:106]
	v_fma_f64 v[125:126], v[46:47], s[0:1], v[135:136]
	v_fma_f64 v[155:156], v[89:90], s[18:19], -v[155:156]
	v_fma_f64 v[135:136], v[46:47], s[40:41], v[135:136]
	v_add_f64_e32 v[28:29], v[183:184], v[28:29]
	v_fma_f64 v[177:178], v[89:90], s[38:39], v[133:134]
	v_add_f64_e32 v[77:78], v[77:78], v[107:108]
	v_fma_f64 v[107:108], v[46:47], s[30:31], v[141:142]
	v_fma_f64 v[133:134], v[89:90], s[38:39], -v[133:134]
	v_fma_f64 v[141:142], v[46:47], s[34:35], v[141:142]
	v_add_f64_e32 v[30:31], v[127:128], v[30:31]
	v_fma_f64 v[127:128], v[89:90], s[20:21], v[159:160]
	v_add_f64_e32 v[109:110], v[145:146], v[109:110]
	v_add_f64_e32 v[93:94], v[191:192], v[93:94]
	v_fma_f64 v[103:104], v[89:90], s[24:25], -v[103:104]
	v_add_f64_e32 v[101:102], v[129:130], v[101:102]
	v_fma_f64 v[129:130], v[89:90], s[28:29], v[87:88]
	v_add_f64_e32 v[111:112], v[147:148], v[111:112]
	v_add_f64_e32 v[14:15], v[14:15], v[22:23]
	;; [unrolled: 1-line block ×7, first 2 shown]
	v_fma_f64 v[145:146], v[46:47], s[10:11], v[165:166]
	v_fma_f64 v[165:166], v[46:47], s[14:15], v[165:166]
	;; [unrolled: 1-line block ×4, first 2 shown]
	v_add_f64_e32 v[24:25], v[131:132], v[69:70]
	v_add_f64_e32 v[26:27], v[149:150], v[26:27]
	;; [unrolled: 1-line block ×3, first 2 shown]
	v_fma_f64 v[115:116], v[36:37], s[20:21], v[99:100]
	v_add_f64_e32 v[16:17], v[38:39], v[16:17]
	v_add_f64_e32 v[38:39], v[123:124], v[95:96]
	v_fma_f64 v[159:160], v[89:90], s[20:21], -v[159:160]
	v_add_f64_e32 v[42:43], v[67:68], v[42:43]
	v_mul_f64_e32 v[67:68], s[12:13], v[83:84]
	v_mul_f64_e32 v[69:70], s[24:25], v[85:86]
	v_fma_f64 v[87:88], v[89:90], s[28:29], -v[87:88]
	v_fma_f64 v[89:90], v[46:47], s[36:37], v[44:45]
	v_fma_f64 v[44:45], v[46:47], s[22:23], v[44:45]
	v_add_f64_e32 v[18:19], v[79:80], v[18:19]
	v_add_f64_e32 v[46:47], v[195:196], v[143:144]
	;; [unrolled: 1-line block ×3, first 2 shown]
	v_fma_f64 v[81:82], v[48:49], s[38:39], v[119:120]
	v_fma_f64 v[85:86], v[48:49], s[38:39], -v[119:120]
	v_fma_f64 v[99:100], v[36:37], s[20:21], -v[99:100]
	v_fma_f64 v[119:120], v[32:33], s[14:15], v[139:140]
	v_add_f64_e32 v[71:72], v[125:126], v[71:72]
	v_add_f64_e32 v[79:80], v[155:156], v[97:98]
	;; [unrolled: 1-line block ×11, first 2 shown]
	v_fma_f64 v[107:108], v[32:33], s[40:41], v[167:168]
	v_fma_f64 v[109:110], v[36:37], s[26:27], v[75:76]
	v_fma_f64 v[125:126], v[36:37], s[38:39], -v[169:170]
	v_add_f64_e32 v[93:94], v[145:146], v[93:94]
	v_add_f64_e32 v[105:106], v[165:166], v[111:112]
	;; [unrolled: 1-line block ×3, first 2 shown]
	v_fma_f64 v[111:112], v[32:33], s[4:5], v[34:35]
	v_add_f64_e32 v[20:21], v[103:104], v[24:25]
	v_add_f64_e32 v[22:23], v[113:114], v[26:27]
	v_add_f64_e32 v[24:25], v[129:130], v[50:51]
	v_fma_f64 v[26:27], v[36:37], s[18:19], v[161:162]
	v_fma_f64 v[50:51], v[32:33], s[0:1], v[167:168]
	v_fma_f64 v[103:104], v[36:37], s[18:19], -v[161:162]
	v_fma_f64 v[34:35], v[32:33], s[16:17], v[34:35]
	v_fma_f64 v[113:114], v[36:37], s[38:39], v[169:170]
	v_fma_f64 v[127:128], v[32:33], s[30:31], v[171:172]
	v_add_f64_e32 v[38:39], v[115:116], v[38:39]
	v_mul_f64_e32 v[115:116], s[14:15], v[60:61]
	v_mul_f64_e32 v[137:138], s[20:21], v[62:63]
	v_add_f64_e32 v[40:41], v[117:118], v[40:41]
	v_fma_f64 v[117:118], v[32:33], s[10:11], v[139:140]
	v_add_f64_e32 v[101:102], v[159:160], v[101:102]
	v_fma_f64 v[75:76], v[36:37], s[26:27], -v[75:76]
	v_fma_f64 v[123:124], v[32:33], s[34:35], v[171:172]
	v_mul_f64_e32 v[129:130], s[4:5], v[60:61]
	v_fma_f64 v[131:132], v[36:37], s[24:25], v[67:68]
	v_mul_f64_e32 v[133:134], s[26:27], v[62:63]
	v_mul_f64_e32 v[135:136], s[12:13], v[60:61]
	;; [unrolled: 1-line block ×5, first 2 shown]
	v_fma_f64 v[173:174], v[36:37], s[28:29], v[151:152]
	v_fma_f64 v[175:176], v[32:33], s[36:37], v[153:154]
	v_fma_f64 v[151:152], v[36:37], s[28:29], -v[151:152]
	v_fma_f64 v[153:154], v[32:33], s[22:23], v[153:154]
	v_mul_f64_e32 v[60:61], s[0:1], v[60:61]
	v_fma_f64 v[36:37], v[36:37], s[24:25], -v[67:68]
	v_add_f64_e32 v[18:19], v[87:88], v[18:19]
	v_fma_f64 v[67:68], v[32:33], s[12:13], v[69:70]
	v_add_f64_e32 v[16:17], v[44:45], v[16:17]
	v_mul_f64_e32 v[44:45], s[18:19], v[62:63]
	v_add_f64_e32 v[46:47], v[89:90], v[46:47]
	v_fma_f64 v[32:33], v[32:33], s[42:43], v[69:70]
	v_add_f64_e32 v[69:70], v[99:100], v[79:80]
	v_add_f64_e32 v[79:80], v[119:120], v[95:96]
	v_fma_f64 v[87:88], v[48:49], s[28:29], -v[157:158]
	v_add_f64_e32 v[95:96], v[6:7], v[10:11]
	v_add_f64_e32 v[99:100], v[4:5], v[8:9]
	;; [unrolled: 1-line block ×12, first 2 shown]
	v_fma_f64 v[113:114], v[48:49], s[20:21], -v[115:116]
	v_fma_f64 v[119:120], v[58:59], s[14:15], v[137:138]
	v_add_f64_e32 v[75:76], v[75:76], v[101:102]
	v_add_f64_e32 v[101:102], v[123:124], v[14:15]
	v_fma_f64 v[20:21], v[48:49], s[26:27], v[129:130]
	v_add_f64_e32 v[105:106], v[131:132], v[24:25]
	v_fma_f64 v[24:25], v[48:49], s[26:27], -v[129:130]
	v_fma_f64 v[107:108], v[58:59], s[16:17], v[133:134]
	v_fma_f64 v[111:112], v[48:49], s[24:25], -v[135:136]
	v_fma_f64 v[123:124], v[58:59], s[12:13], v[139:140]
	v_fma_f64 v[125:126], v[58:59], s[4:5], v[133:134]
	;; [unrolled: 1-line block ×4, first 2 shown]
	v_add_f64_e32 v[65:66], v[151:152], v[65:66]
	v_add_f64_e32 v[42:43], v[153:154], v[42:43]
	v_fma_f64 v[121:122], v[58:59], s[30:31], v[121:122]
	v_add_f64_e32 v[73:74], v[173:174], v[73:74]
	v_add_f64_e32 v[40:41], v[175:176], v[40:41]
	;; [unrolled: 1-line block ×3, first 2 shown]
	v_fma_f64 v[117:118], v[48:49], s[28:29], v[157:158]
	v_fma_f64 v[62:63], v[58:59], s[36:37], v[163:164]
	;; [unrolled: 1-line block ×4, first 2 shown]
	v_fma_f64 v[129:130], v[48:49], s[18:19], -v[60:61]
	v_add_f64_e32 v[131:132], v[36:37], v[18:19]
	v_fma_f64 v[48:49], v[48:49], s[18:19], v[60:61]
	v_add_f64_e32 v[60:61], v[67:68], v[16:17]
	v_fma_f64 v[67:68], v[58:59], s[0:1], v[44:45]
	v_fma_f64 v[127:128], v[58:59], s[42:43], v[139:140]
	;; [unrolled: 1-line block ×4, first 2 shown]
	v_add_f64_e32 v[135:136], v[32:33], v[46:47]
	v_add_f64_e32 v[18:19], v[87:88], v[69:70]
	;; [unrolled: 1-line block ×27, first 2 shown]
	v_mul_u32_u24_e32 v58, 0xd0, v57
	v_lshlrev_b32_e32 v59, 4, v64
	s_delay_alu instid0(VALU_DEP_1)
	v_add3_u32 v58, 0, v58, v59
	ds_store_b128 v58, v[32:35] offset:32
	ds_store_b128 v58, v[28:31] offset:48
	;; [unrolled: 1-line block ×8, first 2 shown]
	ds_store_b128 v58, v[0:3]
	ds_store_b128 v58, v[44:47] offset:16
	ds_store_b128 v58, v[36:39] offset:160
	;; [unrolled: 1-line block ×4, first 2 shown]
.LBB0_14:
	s_or_b32 exec_lo, exec_lo, s33
	global_wb scope:SCOPE_SE
	s_wait_loadcnt_dscnt 0x0
	s_barrier_signal -1
	s_barrier_wait -1
	global_inv scope:SCOPE_SE
	s_and_saveexec_b32 s0, vcc_lo
	s_cbranch_execz .LBB0_16
; %bb.15:
	v_mul_u32_u24_e32 v0, 10, v57
	v_lshlrev_b32_e32 v109, 4, v57
	v_lshlrev_b32_e32 v110, 4, v64
	s_mov_b32 s18, 0xbb3a28a1
	s_mov_b32 s22, 0xfd768dbf
	v_lshlrev_b32_e32 v12, 4, v0
	s_mov_b32 s19, 0xbfe82f19
	v_add3_u32 v81, 0, v109, v110
	s_mov_b32 s23, 0xbfd207e7
	s_mov_b32 s16, 0x43842ef
	s_clause 0x9
	global_load_b128 v[16:19], v12, s[8:9]
	global_load_b128 v[0:3], v12, s[8:9] offset:64
	global_load_b128 v[8:11], v12, s[8:9] offset:48
	;; [unrolled: 1-line block ×9, first 2 shown]
	ds_load_b128 v[40:43], v81 offset:208
	ds_load_b128 v[44:47], v81 offset:832
	;; [unrolled: 1-line block ×10, first 2 shown]
	s_mov_b32 s15, 0x3fed1bb4
	s_mov_b32 s14, 0x8eee2c13
	;; [unrolled: 1-line block ×6, first 2 shown]
	s_wait_alu 0xfffe
	s_mov_b32 s24, s20
	s_mov_b32 s4, 0x7f775887
	;; [unrolled: 1-line block ×15, first 2 shown]
	s_wait_loadcnt_dscnt 0x909
	v_mul_f64_e32 v[85:86], v[40:41], v[18:19]
	v_mul_f64_e32 v[18:19], v[18:19], v[42:43]
	s_wait_loadcnt_dscnt 0x806
	v_mul_f64_e32 v[87:88], v[2:3], v[59:60]
	s_wait_loadcnt_dscnt 0x605
	v_mul_f64_e32 v[91:92], v[6:7], v[63:64]
	s_wait_loadcnt_dscnt 0x504
	v_mul_f64_e32 v[93:94], v[22:23], v[67:68]
	v_mul_f64_e32 v[22:23], v[65:66], v[22:23]
	;; [unrolled: 1-line block ×3, first 2 shown]
	s_wait_loadcnt_dscnt 0x403
	v_mul_f64_e32 v[97:98], v[26:27], v[71:72]
	v_mul_f64_e32 v[99:100], v[57:58], v[2:3]
	;; [unrolled: 1-line block ×3, first 2 shown]
	s_wait_loadcnt_dscnt 0x302
	v_mul_f64_e32 v[101:102], v[30:31], v[75:76]
	s_wait_loadcnt_dscnt 0x201
	v_mul_f64_e32 v[103:104], v[34:35], v[79:80]
	v_mul_f64_e32 v[30:31], v[73:74], v[30:31]
	;; [unrolled: 1-line block ×3, first 2 shown]
	s_wait_loadcnt 0x1
	v_mul_f64_e32 v[105:106], v[38:39], v[50:51]
	v_mul_f64_e32 v[38:39], v[48:49], v[38:39]
	v_add3_u32 v2, 0, v110, v109
	s_wait_loadcnt_dscnt 0x0
	v_mul_f64_e32 v[107:108], v[81:82], v[14:15]
	v_mul_f64_e32 v[89:90], v[10:11], v[46:47]
	;; [unrolled: 1-line block ×3, first 2 shown]
	v_fma_f64 v[42:43], v[16:17], v[42:43], -v[85:86]
	v_fma_f64 v[40:41], v[16:17], v[40:41], v[18:19]
	v_mul_f64_e32 v[85:86], v[14:15], v[83:84]
	ds_load_b128 v[14:17], v2
	v_fma_f64 v[57:58], v[0:1], v[57:58], v[87:88]
	v_fma_f64 v[18:19], v[4:5], v[61:62], v[91:92]
	;; [unrolled: 1-line block ×3, first 2 shown]
	v_fma_f64 v[6:7], v[20:21], v[67:68], -v[22:23]
	v_fma_f64 v[20:21], v[4:5], v[63:64], -v[95:96]
	v_fma_f64 v[22:23], v[24:25], v[69:70], v[97:98]
	v_fma_f64 v[59:60], v[0:1], v[59:60], -v[99:100]
	v_fma_f64 v[24:25], v[24:25], v[71:72], -v[26:27]
	v_fma_f64 v[26:27], v[28:29], v[73:74], v[101:102]
	v_fma_f64 v[0:1], v[32:33], v[77:78], v[103:104]
	v_fma_f64 v[28:29], v[28:29], v[75:76], -v[30:31]
	v_fma_f64 v[4:5], v[32:33], v[79:80], -v[34:35]
	v_fma_f64 v[30:31], v[36:37], v[48:49], v[105:106]
	v_fma_f64 v[32:33], v[36:37], v[50:51], -v[38:39]
	v_fma_f64 v[44:45], v[8:9], v[44:45], v[89:90]
	v_fma_f64 v[46:47], v[8:9], v[46:47], -v[10:11]
	v_fma_f64 v[10:11], v[12:13], v[83:84], -v[107:108]
	s_wait_dscnt 0x0
	v_add_f64_e32 v[34:35], v[16:17], v[42:43]
	v_add_f64_e32 v[36:37], v[40:41], v[14:15]
	v_fma_f64 v[8:9], v[12:13], v[81:82], v[85:86]
	v_add_f64_e64 v[38:39], v[40:41], -v[2:3]
	v_add_f64_e64 v[48:49], v[42:43], -v[6:7]
	v_add_f64_e32 v[42:43], v[42:43], v[6:7]
	v_add_f64_e64 v[61:62], v[57:58], -v[22:23]
	v_add_f64_e32 v[40:41], v[40:41], v[2:3]
	v_add_f64_e64 v[63:64], v[59:60], -v[24:25]
	v_add_f64_e32 v[81:82], v[59:60], v[24:25]
	v_add_f64_e64 v[65:66], v[26:27], -v[0:1]
	v_add_f64_e32 v[77:78], v[26:27], v[0:1]
	v_add_f64_e64 v[67:68], v[28:29], -v[4:5]
	v_add_f64_e32 v[75:76], v[28:29], v[4:5]
	v_add_f64_e32 v[83:84], v[57:58], v[22:23]
	v_add_f64_e64 v[12:13], v[44:45], -v[18:19]
	v_add_f64_e64 v[50:51], v[46:47], -v[20:21]
	;; [unrolled: 1-line block ×3, first 2 shown]
	v_add_f64_e32 v[73:74], v[46:47], v[20:21]
	v_add_f64_e32 v[79:80], v[44:45], v[18:19]
	;; [unrolled: 1-line block ×4, first 2 shown]
	v_add_f64_e64 v[69:70], v[30:31], -v[8:9]
	v_add_f64_e32 v[32:33], v[32:33], v[10:11]
	v_add_f64_e32 v[30:31], v[30:31], v[8:9]
	v_mul_f64_e32 v[87:88], s[22:23], v[38:39]
	v_mul_f64_e32 v[89:90], s[22:23], v[48:49]
	;; [unrolled: 1-line block ×10, first 2 shown]
	s_wait_alu 0xfffe
	v_mul_f64_e32 v[109:110], s[24:25], v[38:39]
	v_mul_f64_e32 v[111:112], s[24:25], v[48:49]
	;; [unrolled: 1-line block ×4, first 2 shown]
	s_mov_b32 s15, 0xbfed1bb4
	v_mul_f64_e32 v[113:114], s[24:25], v[65:66]
	s_wait_alu 0xfffe
	v_mul_f64_e32 v[38:39], s[14:15], v[38:39]
	v_mul_f64_e32 v[48:49], s[14:15], v[48:49]
	;; [unrolled: 1-line block ×16, first 2 shown]
	v_add_f64_e32 v[28:29], v[28:29], v[34:35]
	v_add_f64_e32 v[26:27], v[26:27], v[36:37]
	v_mul_f64_e32 v[34:35], s[18:19], v[65:66]
	v_mul_f64_e32 v[65:66], s[16:17], v[65:66]
	;; [unrolled: 1-line block ×7, first 2 shown]
	v_fma_f64 v[161:162], v[42:43], s[4:5], v[95:96]
	v_fma_f64 v[163:164], v[40:41], s[4:5], -v[97:98]
	v_fma_f64 v[95:96], v[42:43], s[4:5], -v[95:96]
	v_fma_f64 v[97:98], v[40:41], s[4:5], v[97:98]
	v_fma_f64 v[165:166], v[42:43], s[8:9], v[103:104]
	v_fma_f64 v[167:168], v[40:41], s[8:9], -v[105:106]
	v_fma_f64 v[103:104], v[42:43], s[8:9], -v[103:104]
	v_fma_f64 v[105:106], v[40:41], s[8:9], v[105:106]
	;; [unrolled: 4-line block ×3, first 2 shown]
	v_fma_f64 v[175:176], v[75:76], s[12:13], v[113:114]
	v_fma_f64 v[187:188], v[42:43], s[0:1], -v[38:39]
	v_fma_f64 v[189:190], v[40:41], s[0:1], v[48:49]
	v_fma_f64 v[38:39], v[42:43], s[0:1], v[38:39]
	v_fma_f64 v[113:114], v[75:76], s[12:13], -v[113:114]
	v_fma_f64 v[177:178], v[75:76], s[0:1], v[101:102]
	v_fma_f64 v[101:102], v[75:76], s[0:1], -v[101:102]
	;; [unrolled: 2-line block ×3, first 2 shown]
	v_fma_f64 v[191:192], v[30:31], s[4:5], -v[133:134]
	v_fma_f64 v[133:134], v[30:31], s[4:5], v[133:134]
	v_mul_f64_e32 v[36:37], s[22:23], v[12:13]
	v_mul_f64_e32 v[12:13], s[18:19], v[12:13]
	v_fma_f64 v[193:194], v[77:78], s[4:5], -v[135:136]
	v_fma_f64 v[135:136], v[77:78], s[4:5], v[135:136]
	v_mul_f64_e32 v[147:148], s[26:27], v[50:51]
	v_mul_f64_e32 v[50:51], s[18:19], v[50:51]
	v_add_f64_e32 v[28:29], v[46:47], v[28:29]
	v_add_f64_e32 v[26:27], v[44:45], v[26:27]
	v_fma_f64 v[44:45], v[42:43], s[10:11], v[87:88]
	v_fma_f64 v[46:47], v[40:41], s[10:11], -v[89:90]
	v_fma_f64 v[87:88], v[42:43], s[10:11], -v[87:88]
	v_fma_f64 v[89:90], v[40:41], s[10:11], v[89:90]
	v_fma_f64 v[40:41], v[40:41], s[0:1], -v[48:49]
	v_fma_f64 v[173:174], v[75:76], s[4:5], v[34:35]
	;; [unrolled: 2-line block ×7, first 2 shown]
	v_fma_f64 v[48:49], v[32:33], s[4:5], -v[125:126]
	v_fma_f64 v[125:126], v[30:31], s[8:9], -v[129:130]
	v_fma_f64 v[195:196], v[32:33], s[0:1], v[69:70]
	v_fma_f64 v[32:33], v[32:33], s[0:1], -v[69:70]
	v_fma_f64 v[69:70], v[30:31], s[0:1], -v[71:72]
	v_add_f64_e32 v[95:96], v[16:17], v[95:96]
	v_add_f64_e32 v[97:98], v[14:15], v[97:98]
	;; [unrolled: 1-line block ×6, first 2 shown]
	v_fma_f64 v[197:198], v[73:74], s[12:13], v[115:116]
	v_fma_f64 v[115:116], v[73:74], s[12:13], -v[115:116]
	v_fma_f64 v[199:200], v[73:74], s[8:9], v[141:142]
	v_fma_f64 v[141:142], v[73:74], s[8:9], -v[141:142]
	v_mul_f64_e32 v[149:150], s[16:17], v[61:62]
	v_mul_f64_e32 v[151:152], s[16:17], v[63:64]
	;; [unrolled: 1-line block ×5, first 2 shown]
	v_add_f64_e32 v[28:29], v[59:60], v[28:29]
	v_add_f64_e32 v[26:27], v[57:58], v[26:27]
	v_fma_f64 v[57:58], v[30:31], s[12:13], -v[127:128]
	v_fma_f64 v[59:60], v[30:31], s[12:13], v[127:128]
	v_fma_f64 v[127:128], v[30:31], s[8:9], v[129:130]
	v_fma_f64 v[129:130], v[30:31], s[10:11], -v[131:132]
	v_fma_f64 v[131:132], v[30:31], s[10:11], v[131:132]
	v_fma_f64 v[30:31], v[30:31], s[0:1], v[71:72]
	v_add_f64_e32 v[44:45], v[16:17], v[44:45]
	v_add_f64_e32 v[46:47], v[14:15], v[46:47]
	v_add_f64_e32 v[71:72], v[16:17], v[87:88]
	v_add_f64_e32 v[87:88], v[14:15], v[89:90]
	v_add_f64_e32 v[89:90], v[16:17], v[161:162]
	v_add_f64_e32 v[161:162], v[14:15], v[163:164]
	v_add_f64_e32 v[163:164], v[16:17], v[165:166]
	v_add_f64_e32 v[165:166], v[14:15], v[167:168]
	v_add_f64_e32 v[167:168], v[16:17], v[169:170]
	v_add_f64_e32 v[169:170], v[14:15], v[171:172]
	v_add_f64_e32 v[171:172], v[16:17], v[187:188]
	v_add_f64_e32 v[187:188], v[14:15], v[189:190]
	v_add_f64_e32 v[16:17], v[16:17], v[38:39]
	v_add_f64_e32 v[14:15], v[14:15], v[40:41]
	v_fma_f64 v[40:41], v[77:78], s[0:1], v[107:108]
	v_fma_f64 v[38:39], v[77:78], s[0:1], -v[107:108]
	v_fma_f64 v[107:108], v[77:78], s[10:11], -v[139:140]
	v_add_f64_e32 v[103:104], v[123:124], v[103:104]
	v_fma_f64 v[189:190], v[73:74], s[10:11], v[36:37]
	v_add_f64_e32 v[32:33], v[32:33], v[109:110]
	v_fma_f64 v[36:37], v[73:74], s[10:11], -v[36:37]
	v_mul_f64_e32 v[159:160], s[20:21], v[63:64]
	v_fma_f64 v[123:124], v[79:80], s[8:9], -v[147:148]
	v_mul_f64_e32 v[61:62], s[22:23], v[61:62]
	v_mul_f64_e32 v[63:64], s[22:23], v[63:64]
	v_add_f64_e32 v[24:25], v[24:25], v[28:29]
	v_add_f64_e32 v[22:23], v[22:23], v[26:27]
	v_fma_f64 v[26:27], v[77:78], s[12:13], -v[137:138]
	v_fma_f64 v[28:29], v[77:78], s[12:13], v[137:138]
	v_fma_f64 v[137:138], v[77:78], s[10:11], v[139:140]
	v_fma_f64 v[139:140], v[77:78], s[8:9], -v[67:68]
	v_add_f64_e32 v[105:106], v[131:132], v[105:106]
	v_fma_f64 v[67:68], v[77:78], s[8:9], v[67:68]
	v_add_f64_e32 v[44:45], v[75:76], v[44:45]
	v_add_f64_e32 v[46:47], v[57:58], v[46:47]
	;; [unrolled: 1-line block ×17, first 2 shown]
	v_fma_f64 v[77:78], v[73:74], s[0:1], v[85:86]
	v_fma_f64 v[85:86], v[73:74], s[0:1], -v[85:86]
	v_fma_f64 v[42:43], v[79:80], s[0:1], v[91:92]
	v_fma_f64 v[121:122], v[79:80], s[12:13], v[145:146]
	;; [unrolled: 1-line block ×3, first 2 shown]
	v_add_f64_e32 v[32:33], v[65:66], v[32:33]
	v_fma_f64 v[111:112], v[79:80], s[12:13], -v[145:146]
	v_fma_f64 v[127:128], v[79:80], s[4:5], -v[50:51]
	v_fma_f64 v[50:51], v[79:80], s[4:5], v[50:51]
	v_fma_f64 v[131:132], v[81:82], s[8:9], -v[149:150]
	v_fma_f64 v[133:134], v[83:84], s[8:9], v[151:152]
	v_fma_f64 v[129:130], v[83:84], s[8:9], -v[151:152]
	v_add_f64_e32 v[20:21], v[20:21], v[24:25]
	v_add_f64_e32 v[18:19], v[18:19], v[22:23]
	v_fma_f64 v[22:23], v[73:74], s[4:5], v[12:13]
	v_fma_f64 v[12:13], v[73:74], s[4:5], -v[12:13]
	v_fma_f64 v[24:25], v[79:80], s[0:1], -v[91:92]
	;; [unrolled: 1-line block ×3, first 2 shown]
	v_fma_f64 v[91:92], v[79:80], s[10:11], v[143:144]
	v_add_f64_e32 v[40:41], v[40:41], v[105:106]
	v_add_f64_e32 v[44:45], v[173:174], v[44:45]
	;; [unrolled: 1-line block ×19, first 2 shown]
	v_fma_f64 v[67:68], v[81:82], s[0:1], -v[93:94]
	v_fma_f64 v[79:80], v[81:82], s[8:9], v[149:150]
	v_fma_f64 v[101:102], v[83:84], s[4:5], v[155:156]
	v_fma_f64 v[107:108], v[81:82], s[12:13], -v[157:158]
	v_fma_f64 v[109:110], v[83:84], s[12:13], v[159:160]
	v_fma_f64 v[95:96], v[81:82], s[4:5], v[153:154]
	v_fma_f64 v[97:98], v[83:84], s[4:5], -v[155:156]
	v_fma_f64 v[103:104], v[81:82], s[12:13], v[157:158]
	v_fma_f64 v[105:106], v[83:84], s[12:13], -v[159:160]
	;; [unrolled: 2-line block ×3, first 2 shown]
	v_add_f64_e32 v[4:5], v[4:5], v[20:21]
	v_add_f64_e32 v[0:1], v[0:1], v[18:19]
	v_fma_f64 v[18:19], v[81:82], s[0:1], v[93:94]
	v_fma_f64 v[20:21], v[83:84], s[0:1], -v[99:100]
	v_fma_f64 v[93:94], v[83:84], s[0:1], v[99:100]
	v_fma_f64 v[99:100], v[81:82], s[4:5], -v[153:154]
	v_fma_f64 v[81:82], v[83:84], s[10:11], -v[63:64]
	v_add_f64_e32 v[40:41], v[121:122], v[40:41]
	v_add_f64_e32 v[44:45], v[77:78], v[44:45]
	;; [unrolled: 1-line block ×16, first 2 shown]
	v_fma_f64 v[63:64], v[83:84], s[10:11], v[63:64]
	v_add_f64_e32 v[73:74], v[12:13], v[32:33]
	v_add_f64_e32 v[50:51], v[50:51], v[30:31]
	;; [unrolled: 1-line block ×4, first 2 shown]
	v_mul_lo_u32 v83, s3, v54
	v_mul_lo_u32 v84, s2, v55
	v_mad_co_u64_u32 v[54:55], null, s2, v54, 0
	s_delay_alu instid0(VALU_DEP_1)
	v_add3_u32 v55, v55, v84, v83
	v_add_f64_e32 v[4:5], v[10:11], v[4:5]
	v_add_f64_e32 v[0:1], v[8:9], v[0:1]
	;; [unrolled: 1-line block ×15, first 2 shown]
	v_mov_b32_e32 v57, 0
	v_add_f64_e32 v[24:25], v[97:98], v[38:39]
	v_add_f64_e32 v[46:47], v[103:104], v[75:76]
	;; [unrolled: 1-line block ×9, first 2 shown]
	v_lshlrev_b64_e32 v[0:1], 4, v[54:55]
	v_lshlrev_b64_e32 v[6:7], 4, v[52:53]
	s_delay_alu instid0(VALU_DEP_2) | instskip(SKIP_1) | instid1(VALU_DEP_3)
	v_add_co_u32 v48, vcc_lo, s6, v0
	s_wait_alu 0xfffd
	v_add_co_ci_u32_e32 v49, vcc_lo, s7, v1, vcc_lo
	v_lshlrev_b64_e32 v[0:1], 4, v[56:57]
	s_delay_alu instid0(VALU_DEP_3) | instskip(SKIP_1) | instid1(VALU_DEP_3)
	v_add_co_u32 v6, vcc_lo, v48, v6
	s_wait_alu 0xfffd
	v_add_co_ci_u32_e32 v7, vcc_lo, v49, v7, vcc_lo
	s_delay_alu instid0(VALU_DEP_2) | instskip(SKIP_1) | instid1(VALU_DEP_2)
	v_add_co_u32 v0, vcc_lo, v6, v0
	s_wait_alu 0xfffd
	v_add_co_ci_u32_e32 v1, vcc_lo, v7, v1, vcc_lo
	s_clause 0xa
	global_store_b128 v[0:1], v[20:23], off offset:832
	global_store_b128 v[0:1], v[12:15], off offset:1040
	;; [unrolled: 1-line block ×9, first 2 shown]
	global_store_b128 v[0:1], v[2:5], off
	global_store_b128 v[0:1], v[32:35], off offset:2080
.LBB0_16:
	s_nop 0
	s_sendmsg sendmsg(MSG_DEALLOC_VGPRS)
	s_endpgm
	.section	.rodata,"a",@progbits
	.p2align	6, 0x0
	.amdhsa_kernel fft_rtc_back_len143_factors_13_11_wgs_182_tpt_13_dp_op_CI_CI_unitstride_sbrr_dirReg
		.amdhsa_group_segment_fixed_size 0
		.amdhsa_private_segment_fixed_size 0
		.amdhsa_kernarg_size 104
		.amdhsa_user_sgpr_count 2
		.amdhsa_user_sgpr_dispatch_ptr 0
		.amdhsa_user_sgpr_queue_ptr 0
		.amdhsa_user_sgpr_kernarg_segment_ptr 1
		.amdhsa_user_sgpr_dispatch_id 0
		.amdhsa_user_sgpr_private_segment_size 0
		.amdhsa_wavefront_size32 1
		.amdhsa_uses_dynamic_stack 0
		.amdhsa_enable_private_segment 0
		.amdhsa_system_sgpr_workgroup_id_x 1
		.amdhsa_system_sgpr_workgroup_id_y 0
		.amdhsa_system_sgpr_workgroup_id_z 0
		.amdhsa_system_sgpr_workgroup_info 0
		.amdhsa_system_vgpr_workitem_id 0
		.amdhsa_next_free_vgpr 201
		.amdhsa_next_free_sgpr 44
		.amdhsa_reserve_vcc 1
		.amdhsa_float_round_mode_32 0
		.amdhsa_float_round_mode_16_64 0
		.amdhsa_float_denorm_mode_32 3
		.amdhsa_float_denorm_mode_16_64 3
		.amdhsa_fp16_overflow 0
		.amdhsa_workgroup_processor_mode 1
		.amdhsa_memory_ordered 1
		.amdhsa_forward_progress 0
		.amdhsa_round_robin_scheduling 0
		.amdhsa_exception_fp_ieee_invalid_op 0
		.amdhsa_exception_fp_denorm_src 0
		.amdhsa_exception_fp_ieee_div_zero 0
		.amdhsa_exception_fp_ieee_overflow 0
		.amdhsa_exception_fp_ieee_underflow 0
		.amdhsa_exception_fp_ieee_inexact 0
		.amdhsa_exception_int_div_zero 0
	.end_amdhsa_kernel
	.text
.Lfunc_end0:
	.size	fft_rtc_back_len143_factors_13_11_wgs_182_tpt_13_dp_op_CI_CI_unitstride_sbrr_dirReg, .Lfunc_end0-fft_rtc_back_len143_factors_13_11_wgs_182_tpt_13_dp_op_CI_CI_unitstride_sbrr_dirReg
                                        ; -- End function
	.section	.AMDGPU.csdata,"",@progbits
; Kernel info:
; codeLenInByte = 7024
; NumSgprs: 46
; NumVgprs: 201
; ScratchSize: 0
; MemoryBound: 1
; FloatMode: 240
; IeeeMode: 1
; LDSByteSize: 0 bytes/workgroup (compile time only)
; SGPRBlocks: 5
; VGPRBlocks: 25
; NumSGPRsForWavesPerEU: 46
; NumVGPRsForWavesPerEU: 201
; Occupancy: 7
; WaveLimiterHint : 1
; COMPUTE_PGM_RSRC2:SCRATCH_EN: 0
; COMPUTE_PGM_RSRC2:USER_SGPR: 2
; COMPUTE_PGM_RSRC2:TRAP_HANDLER: 0
; COMPUTE_PGM_RSRC2:TGID_X_EN: 1
; COMPUTE_PGM_RSRC2:TGID_Y_EN: 0
; COMPUTE_PGM_RSRC2:TGID_Z_EN: 0
; COMPUTE_PGM_RSRC2:TIDIG_COMP_CNT: 0
	.text
	.p2alignl 7, 3214868480
	.fill 96, 4, 3214868480
	.type	__hip_cuid_2272f5f0809ea8d2,@object ; @__hip_cuid_2272f5f0809ea8d2
	.section	.bss,"aw",@nobits
	.globl	__hip_cuid_2272f5f0809ea8d2
__hip_cuid_2272f5f0809ea8d2:
	.byte	0                               ; 0x0
	.size	__hip_cuid_2272f5f0809ea8d2, 1

	.ident	"AMD clang version 19.0.0git (https://github.com/RadeonOpenCompute/llvm-project roc-6.4.0 25133 c7fe45cf4b819c5991fe208aaa96edf142730f1d)"
	.section	".note.GNU-stack","",@progbits
	.addrsig
	.addrsig_sym __hip_cuid_2272f5f0809ea8d2
	.amdgpu_metadata
---
amdhsa.kernels:
  - .args:
      - .actual_access:  read_only
        .address_space:  global
        .offset:         0
        .size:           8
        .value_kind:     global_buffer
      - .offset:         8
        .size:           8
        .value_kind:     by_value
      - .actual_access:  read_only
        .address_space:  global
        .offset:         16
        .size:           8
        .value_kind:     global_buffer
      - .actual_access:  read_only
        .address_space:  global
        .offset:         24
        .size:           8
        .value_kind:     global_buffer
      - .actual_access:  read_only
        .address_space:  global
        .offset:         32
        .size:           8
        .value_kind:     global_buffer
      - .offset:         40
        .size:           8
        .value_kind:     by_value
      - .actual_access:  read_only
        .address_space:  global
        .offset:         48
        .size:           8
        .value_kind:     global_buffer
      - .actual_access:  read_only
        .address_space:  global
        .offset:         56
        .size:           8
        .value_kind:     global_buffer
      - .offset:         64
        .size:           4
        .value_kind:     by_value
      - .actual_access:  read_only
        .address_space:  global
        .offset:         72
        .size:           8
        .value_kind:     global_buffer
      - .actual_access:  read_only
        .address_space:  global
        .offset:         80
        .size:           8
        .value_kind:     global_buffer
      - .actual_access:  read_only
        .address_space:  global
        .offset:         88
        .size:           8
        .value_kind:     global_buffer
      - .actual_access:  write_only
        .address_space:  global
        .offset:         96
        .size:           8
        .value_kind:     global_buffer
    .group_segment_fixed_size: 0
    .kernarg_segment_align: 8
    .kernarg_segment_size: 104
    .language:       OpenCL C
    .language_version:
      - 2
      - 0
    .max_flat_workgroup_size: 182
    .name:           fft_rtc_back_len143_factors_13_11_wgs_182_tpt_13_dp_op_CI_CI_unitstride_sbrr_dirReg
    .private_segment_fixed_size: 0
    .sgpr_count:     46
    .sgpr_spill_count: 0
    .symbol:         fft_rtc_back_len143_factors_13_11_wgs_182_tpt_13_dp_op_CI_CI_unitstride_sbrr_dirReg.kd
    .uniform_work_group_size: 1
    .uses_dynamic_stack: false
    .vgpr_count:     201
    .vgpr_spill_count: 0
    .wavefront_size: 32
    .workgroup_processor_mode: 1
amdhsa.target:   amdgcn-amd-amdhsa--gfx1201
amdhsa.version:
  - 1
  - 2
...

	.end_amdgpu_metadata
